;; amdgpu-corpus repo=ROCm/rocFFT kind=compiled arch=gfx906 opt=O3
	.text
	.amdgcn_target "amdgcn-amd-amdhsa--gfx906"
	.amdhsa_code_object_version 6
	.protected	fft_rtc_fwd_len1210_factors_2_5_11_11_wgs_110_tpt_110_halfLds_sp_op_CI_CI_unitstride_sbrr_R2C_dirReg ; -- Begin function fft_rtc_fwd_len1210_factors_2_5_11_11_wgs_110_tpt_110_halfLds_sp_op_CI_CI_unitstride_sbrr_R2C_dirReg
	.globl	fft_rtc_fwd_len1210_factors_2_5_11_11_wgs_110_tpt_110_halfLds_sp_op_CI_CI_unitstride_sbrr_R2C_dirReg
	.p2align	8
	.type	fft_rtc_fwd_len1210_factors_2_5_11_11_wgs_110_tpt_110_halfLds_sp_op_CI_CI_unitstride_sbrr_R2C_dirReg,@function
fft_rtc_fwd_len1210_factors_2_5_11_11_wgs_110_tpt_110_halfLds_sp_op_CI_CI_unitstride_sbrr_R2C_dirReg: ; @fft_rtc_fwd_len1210_factors_2_5_11_11_wgs_110_tpt_110_halfLds_sp_op_CI_CI_unitstride_sbrr_R2C_dirReg
; %bb.0:
	s_load_dwordx4 s[8:11], s[4:5], 0x58
	s_load_dwordx4 s[12:15], s[4:5], 0x0
	;; [unrolled: 1-line block ×3, first 2 shown]
	v_mul_u32_u24_e32 v1, 0x254, v0
	v_add_u32_sdwa v5, s6, v1 dst_sel:DWORD dst_unused:UNUSED_PAD src0_sel:DWORD src1_sel:WORD_1
	v_mov_b32_e32 v3, 0
	s_waitcnt lgkmcnt(0)
	v_cmp_lt_u64_e64 s[0:1], s[14:15], 2
	v_mov_b32_e32 v1, 0
	v_mov_b32_e32 v6, v3
	s_and_b64 vcc, exec, s[0:1]
	v_mov_b32_e32 v2, 0
	s_cbranch_vccnz .LBB0_8
; %bb.1:
	s_load_dwordx2 s[0:1], s[4:5], 0x10
	s_add_u32 s2, s18, 8
	s_addc_u32 s3, s19, 0
	s_add_u32 s6, s16, 8
	v_mov_b32_e32 v1, 0
	s_addc_u32 s7, s17, 0
	v_mov_b32_e32 v2, 0
	s_waitcnt lgkmcnt(0)
	s_add_u32 s20, s0, 8
	v_mov_b32_e32 v33, v2
	s_addc_u32 s21, s1, 0
	s_mov_b64 s[22:23], 1
	v_mov_b32_e32 v32, v1
.LBB0_2:                                ; =>This Inner Loop Header: Depth=1
	s_load_dwordx2 s[24:25], s[20:21], 0x0
                                        ; implicit-def: $vgpr34_vgpr35
	s_waitcnt lgkmcnt(0)
	v_or_b32_e32 v4, s25, v6
	v_cmp_ne_u64_e32 vcc, 0, v[3:4]
	s_and_saveexec_b64 s[0:1], vcc
	s_xor_b64 s[26:27], exec, s[0:1]
	s_cbranch_execz .LBB0_4
; %bb.3:                                ;   in Loop: Header=BB0_2 Depth=1
	v_cvt_f32_u32_e32 v4, s24
	v_cvt_f32_u32_e32 v7, s25
	s_sub_u32 s0, 0, s24
	s_subb_u32 s1, 0, s25
	v_mac_f32_e32 v4, 0x4f800000, v7
	v_rcp_f32_e32 v4, v4
	v_mul_f32_e32 v4, 0x5f7ffffc, v4
	v_mul_f32_e32 v7, 0x2f800000, v4
	v_trunc_f32_e32 v7, v7
	v_mac_f32_e32 v4, 0xcf800000, v7
	v_cvt_u32_f32_e32 v7, v7
	v_cvt_u32_f32_e32 v4, v4
	v_mul_lo_u32 v8, s0, v7
	v_mul_hi_u32 v9, s0, v4
	v_mul_lo_u32 v11, s1, v4
	v_mul_lo_u32 v10, s0, v4
	v_add_u32_e32 v8, v9, v8
	v_add_u32_e32 v8, v8, v11
	v_mul_hi_u32 v9, v4, v10
	v_mul_lo_u32 v11, v4, v8
	v_mul_hi_u32 v13, v4, v8
	v_mul_hi_u32 v12, v7, v10
	v_mul_lo_u32 v10, v7, v10
	v_mul_hi_u32 v14, v7, v8
	v_add_co_u32_e32 v9, vcc, v9, v11
	v_addc_co_u32_e32 v11, vcc, 0, v13, vcc
	v_mul_lo_u32 v8, v7, v8
	v_add_co_u32_e32 v9, vcc, v9, v10
	v_addc_co_u32_e32 v9, vcc, v11, v12, vcc
	v_addc_co_u32_e32 v10, vcc, 0, v14, vcc
	v_add_co_u32_e32 v8, vcc, v9, v8
	v_addc_co_u32_e32 v9, vcc, 0, v10, vcc
	v_add_co_u32_e32 v4, vcc, v4, v8
	v_addc_co_u32_e32 v7, vcc, v7, v9, vcc
	v_mul_lo_u32 v8, s0, v7
	v_mul_hi_u32 v9, s0, v4
	v_mul_lo_u32 v10, s1, v4
	v_mul_lo_u32 v11, s0, v4
	v_add_u32_e32 v8, v9, v8
	v_add_u32_e32 v8, v8, v10
	v_mul_lo_u32 v12, v4, v8
	v_mul_hi_u32 v13, v4, v11
	v_mul_hi_u32 v14, v4, v8
	v_mul_hi_u32 v10, v7, v11
	v_mul_lo_u32 v11, v7, v11
	v_mul_hi_u32 v9, v7, v8
	v_add_co_u32_e32 v12, vcc, v13, v12
	v_addc_co_u32_e32 v13, vcc, 0, v14, vcc
	v_mul_lo_u32 v8, v7, v8
	v_add_co_u32_e32 v11, vcc, v12, v11
	v_addc_co_u32_e32 v10, vcc, v13, v10, vcc
	v_addc_co_u32_e32 v9, vcc, 0, v9, vcc
	v_add_co_u32_e32 v8, vcc, v10, v8
	v_addc_co_u32_e32 v9, vcc, 0, v9, vcc
	v_add_co_u32_e32 v4, vcc, v4, v8
	v_addc_co_u32_e32 v9, vcc, v7, v9, vcc
	v_mad_u64_u32 v[7:8], s[0:1], v5, v9, 0
	v_mul_hi_u32 v10, v5, v4
	v_add_co_u32_e32 v11, vcc, v10, v7
	v_addc_co_u32_e32 v12, vcc, 0, v8, vcc
	v_mad_u64_u32 v[7:8], s[0:1], v6, v4, 0
	v_mad_u64_u32 v[9:10], s[0:1], v6, v9, 0
	v_add_co_u32_e32 v4, vcc, v11, v7
	v_addc_co_u32_e32 v4, vcc, v12, v8, vcc
	v_addc_co_u32_e32 v7, vcc, 0, v10, vcc
	v_add_co_u32_e32 v4, vcc, v4, v9
	v_addc_co_u32_e32 v9, vcc, 0, v7, vcc
	v_mul_lo_u32 v10, s25, v4
	v_mul_lo_u32 v11, s24, v9
	v_mad_u64_u32 v[7:8], s[0:1], s24, v4, 0
	v_add3_u32 v8, v8, v11, v10
	v_sub_u32_e32 v10, v6, v8
	v_mov_b32_e32 v11, s25
	v_sub_co_u32_e32 v7, vcc, v5, v7
	v_subb_co_u32_e64 v10, s[0:1], v10, v11, vcc
	v_subrev_co_u32_e64 v11, s[0:1], s24, v7
	v_subbrev_co_u32_e64 v10, s[0:1], 0, v10, s[0:1]
	v_cmp_le_u32_e64 s[0:1], s25, v10
	v_cndmask_b32_e64 v12, 0, -1, s[0:1]
	v_cmp_le_u32_e64 s[0:1], s24, v11
	v_cndmask_b32_e64 v11, 0, -1, s[0:1]
	v_cmp_eq_u32_e64 s[0:1], s25, v10
	v_cndmask_b32_e64 v10, v12, v11, s[0:1]
	v_add_co_u32_e64 v11, s[0:1], 2, v4
	v_addc_co_u32_e64 v12, s[0:1], 0, v9, s[0:1]
	v_add_co_u32_e64 v13, s[0:1], 1, v4
	v_addc_co_u32_e64 v14, s[0:1], 0, v9, s[0:1]
	v_subb_co_u32_e32 v8, vcc, v6, v8, vcc
	v_cmp_ne_u32_e64 s[0:1], 0, v10
	v_cmp_le_u32_e32 vcc, s25, v8
	v_cndmask_b32_e64 v10, v14, v12, s[0:1]
	v_cndmask_b32_e64 v12, 0, -1, vcc
	v_cmp_le_u32_e32 vcc, s24, v7
	v_cndmask_b32_e64 v7, 0, -1, vcc
	v_cmp_eq_u32_e32 vcc, s25, v8
	v_cndmask_b32_e32 v7, v12, v7, vcc
	v_cmp_ne_u32_e32 vcc, 0, v7
	v_cndmask_b32_e64 v7, v13, v11, s[0:1]
	v_cndmask_b32_e32 v35, v9, v10, vcc
	v_cndmask_b32_e32 v34, v4, v7, vcc
.LBB0_4:                                ;   in Loop: Header=BB0_2 Depth=1
	s_andn2_saveexec_b64 s[0:1], s[26:27]
	s_cbranch_execz .LBB0_6
; %bb.5:                                ;   in Loop: Header=BB0_2 Depth=1
	v_cvt_f32_u32_e32 v4, s24
	s_sub_i32 s26, 0, s24
	v_mov_b32_e32 v35, v3
	v_rcp_iflag_f32_e32 v4, v4
	v_mul_f32_e32 v4, 0x4f7ffffe, v4
	v_cvt_u32_f32_e32 v4, v4
	v_mul_lo_u32 v7, s26, v4
	v_mul_hi_u32 v7, v4, v7
	v_add_u32_e32 v4, v4, v7
	v_mul_hi_u32 v4, v5, v4
	v_mul_lo_u32 v7, v4, s24
	v_add_u32_e32 v8, 1, v4
	v_sub_u32_e32 v7, v5, v7
	v_subrev_u32_e32 v9, s24, v7
	v_cmp_le_u32_e32 vcc, s24, v7
	v_cndmask_b32_e32 v7, v7, v9, vcc
	v_cndmask_b32_e32 v4, v4, v8, vcc
	v_add_u32_e32 v8, 1, v4
	v_cmp_le_u32_e32 vcc, s24, v7
	v_cndmask_b32_e32 v34, v4, v8, vcc
.LBB0_6:                                ;   in Loop: Header=BB0_2 Depth=1
	s_or_b64 exec, exec, s[0:1]
	v_mul_lo_u32 v4, v35, s24
	v_mul_lo_u32 v9, v34, s25
	v_mad_u64_u32 v[7:8], s[0:1], v34, s24, 0
	s_load_dwordx2 s[0:1], s[6:7], 0x0
	s_load_dwordx2 s[24:25], s[2:3], 0x0
	v_add3_u32 v4, v8, v9, v4
	v_sub_co_u32_e32 v5, vcc, v5, v7
	v_subb_co_u32_e32 v4, vcc, v6, v4, vcc
	s_waitcnt lgkmcnt(0)
	v_mul_lo_u32 v6, s0, v4
	v_mul_lo_u32 v7, s1, v5
	v_mad_u64_u32 v[1:2], s[0:1], s0, v5, v[1:2]
	v_mul_lo_u32 v4, s24, v4
	v_mul_lo_u32 v8, s25, v5
	v_mad_u64_u32 v[32:33], s[0:1], s24, v5, v[32:33]
	s_add_u32 s22, s22, 1
	s_addc_u32 s23, s23, 0
	s_add_u32 s2, s2, 8
	v_add3_u32 v33, v8, v33, v4
	s_addc_u32 s3, s3, 0
	v_mov_b32_e32 v4, s14
	s_add_u32 s6, s6, 8
	v_mov_b32_e32 v5, s15
	s_addc_u32 s7, s7, 0
	v_cmp_ge_u64_e32 vcc, s[22:23], v[4:5]
	s_add_u32 s20, s20, 8
	v_add3_u32 v2, v7, v2, v6
	s_addc_u32 s21, s21, 0
	s_cbranch_vccnz .LBB0_9
; %bb.7:                                ;   in Loop: Header=BB0_2 Depth=1
	v_mov_b32_e32 v5, v34
	v_mov_b32_e32 v6, v35
	s_branch .LBB0_2
.LBB0_8:
	v_mov_b32_e32 v33, v2
	v_mov_b32_e32 v35, v6
	;; [unrolled: 1-line block ×4, first 2 shown]
.LBB0_9:
	s_load_dwordx2 s[4:5], s[4:5], 0x28
	s_lshl_b64 s[6:7], s[14:15], 3
	s_add_u32 s2, s18, s6
	s_addc_u32 s3, s19, s7
                                        ; implicit-def: $vgpr36
                                        ; implicit-def: $vgpr38
                                        ; implicit-def: $vgpr43
                                        ; implicit-def: $vgpr42
                                        ; implicit-def: $vgpr41
                                        ; implicit-def: $vgpr40
	s_waitcnt lgkmcnt(0)
	v_cmp_gt_u64_e64 s[0:1], s[4:5], v[34:35]
	v_cmp_le_u64_e32 vcc, s[4:5], v[34:35]
	s_and_saveexec_b64 s[4:5], vcc
	s_xor_b64 s[4:5], exec, s[4:5]
; %bb.10:
	s_mov_b32 s14, 0x253c826
	v_mul_hi_u32 v1, v0, s14
	v_mul_u32_u24_e32 v1, 0x6e, v1
	v_sub_u32_e32 v36, v0, v1
	v_add_u32_e32 v38, 0x6e, v36
	v_add_u32_e32 v43, 0xdc, v36
	;; [unrolled: 1-line block ×5, first 2 shown]
                                        ; implicit-def: $vgpr0
                                        ; implicit-def: $vgpr1_vgpr2
; %bb.11:
	s_andn2_saveexec_b64 s[4:5], s[4:5]
	s_cbranch_execz .LBB0_13
; %bb.12:
	s_add_u32 s6, s16, s6
	s_addc_u32 s7, s17, s7
	s_load_dwordx2 s[6:7], s[6:7], 0x0
	s_mov_b32 s14, 0x253c826
	v_mul_hi_u32 v5, v0, s14
	s_waitcnt lgkmcnt(0)
	v_mul_lo_u32 v6, s7, v34
	v_mul_lo_u32 v7, s6, v35
	v_mad_u64_u32 v[3:4], s[6:7], s6, v34, 0
	v_mul_u32_u24_e32 v5, 0x6e, v5
	v_sub_u32_e32 v36, v0, v5
	v_add3_u32 v4, v4, v7, v6
	v_lshlrev_b64 v[3:4], 3, v[3:4]
	v_mov_b32_e32 v0, s9
	v_add_co_u32_e32 v3, vcc, s8, v3
	v_addc_co_u32_e32 v4, vcc, v0, v4, vcc
	v_lshlrev_b64 v[0:1], 3, v[1:2]
	v_lshlrev_b32_e32 v26, 3, v36
	v_add_co_u32_e32 v0, vcc, v3, v0
	v_addc_co_u32_e32 v1, vcc, v4, v1, vcc
	v_add_co_u32_e32 v0, vcc, v0, v26
	v_addc_co_u32_e32 v1, vcc, 0, v1, vcc
	s_movk_i32 s6, 0x1000
	v_add_co_u32_e32 v10, vcc, s6, v0
	v_addc_co_u32_e32 v11, vcc, 0, v1, vcc
	global_load_dwordx2 v[2:3], v[0:1], off
	global_load_dwordx2 v[4:5], v[0:1], off offset:880
	global_load_dwordx2 v[6:7], v[0:1], off offset:1760
	;; [unrolled: 1-line block ×7, first 2 shown]
	v_add_co_u32_e32 v0, vcc, 0x2000, v0
	v_addc_co_u32_e32 v1, vcc, 0, v1, vcc
	global_load_dwordx2 v[20:21], v[10:11], off offset:2944
	global_load_dwordx2 v[22:23], v[10:11], off offset:3824
	;; [unrolled: 1-line block ×3, first 2 shown]
	v_add_u32_e32 v38, 0x6e, v36
	v_add_u32_e32 v43, 0xdc, v36
	;; [unrolled: 1-line block ×10, first 2 shown]
	s_waitcnt vmcnt(9)
	ds_write2_b64 v0, v[2:3], v[4:5] offset1:110
	s_waitcnt vmcnt(7)
	ds_write2_b64 v1, v[6:7], v[8:9] offset0:92 offset1:202
	s_waitcnt vmcnt(5)
	ds_write2_b64 v10, v[12:13], v[14:15] offset0:56 offset1:166
	;; [unrolled: 2-line block ×4, first 2 shown]
	s_waitcnt vmcnt(0)
	ds_write_b64 v0, v[24:25] offset:8800
.LBB0_13:
	s_or_b64 exec, exec, s[4:5]
	v_lshlrev_b32_e32 v37, 3, v36
	v_add_u32_e32 v50, 0, v37
	v_add_u32_e32 v0, 0x1000, v50
	s_load_dwordx2 s[4:5], s[2:3], 0x0
	s_waitcnt lgkmcnt(0)
	s_barrier
	ds_read2_b64 v[2:5], v50 offset1:110
	ds_read2_b64 v[6:9], v0 offset0:93 offset1:203
	v_add_u32_e32 v10, 0x400, v50
	v_add_u32_e32 v14, 0xc00, v50
	;; [unrolled: 1-line block ×4, first 2 shown]
	ds_read2_b64 v[10:13], v10 offset0:92 offset1:202
	ds_read2_b64 v[14:17], v14 offset0:56 offset1:166
	;; [unrolled: 1-line block ×4, first 2 shown]
	s_waitcnt lgkmcnt(4)
	v_sub_f32_e32 v6, v2, v6
	v_sub_f32_e32 v7, v3, v7
	v_fma_f32 v2, v2, 2.0, -v6
	v_fma_f32 v3, v3, 2.0, -v7
	v_add_u32_e32 v26, v50, v37
	s_waitcnt lgkmcnt(0)
	s_barrier
	ds_write2_b64 v26, v[2:3], v[6:7] offset1:1
	v_sub_f32_e32 v2, v4, v8
	v_sub_f32_e32 v3, v5, v9
	v_fma_f32 v4, v4, 2.0, -v2
	v_fma_f32 v5, v5, 2.0, -v3
	v_sub_f32_e32 v6, v10, v22
	v_sub_f32_e32 v7, v11, v23
	v_lshl_add_u32 v39, v38, 4, 0
	v_sub_f32_e32 v8, v12, v24
	v_sub_f32_e32 v9, v13, v25
	v_fma_f32 v10, v10, 2.0, -v6
	v_fma_f32 v11, v11, 2.0, -v7
	ds_write2_b64 v39, v[4:5], v[2:3] offset1:1
	v_lshl_add_u32 v2, v43, 4, 0
	v_fma_f32 v12, v12, 2.0, -v8
	v_fma_f32 v13, v13, 2.0, -v9
	ds_write2_b64 v2, v[10:11], v[6:7] offset1:1
	v_lshl_add_u32 v3, v42, 4, 0
	v_sub_f32_e32 v6, v14, v18
	v_sub_f32_e32 v7, v15, v19
	;; [unrolled: 1-line block ×4, first 2 shown]
	ds_write2_b64 v3, v[12:13], v[8:9] offset1:1
	v_fma_f32 v8, v14, 2.0, -v6
	v_fma_f32 v9, v15, 2.0, -v7
	v_fma_f32 v44, v16, 2.0, -v4
	v_fma_f32 v45, v17, 2.0, -v5
	v_lshl_add_u32 v3, v41, 4, 0
	v_cmp_gt_u32_e32 vcc, 55, v36
	ds_write2_b64 v3, v[8:9], v[6:7] offset1:1
	s_and_saveexec_b64 s[2:3], vcc
	s_cbranch_execz .LBB0_15
; %bb.14:
	v_lshl_add_u32 v3, v40, 4, 0
	ds_write2_b64 v3, v[44:45], v[4:5] offset1:1
.LBB0_15:
	s_or_b64 exec, exec, s[2:3]
	v_add_u32_e32 v3, 0x800, v50
	v_lshlrev_b32_e32 v53, 3, v38
	s_waitcnt lgkmcnt(0)
	s_barrier
	ds_read2_b64 v[16:19], v50 offset1:242
	ds_read2_b64 v[28:31], v3 offset0:96 offset1:228
	ds_read2_b64 v[24:27], v0 offset0:82 offset1:214
	ds_read2_b64 v[20:23], v1 offset0:68 offset1:200
	v_sub_u32_e32 v0, v39, v53
	ds_read_b64 v[46:47], v0
	ds_read_b64 v[48:49], v50 offset:8624
	v_cmp_gt_u32_e64 s[2:3], 22, v36
                                        ; implicit-def: $vgpr3
                                        ; implicit-def: $vgpr7
	s_and_saveexec_b64 s[6:7], s[2:3]
	s_cbranch_execz .LBB0_17
; %bb.16:
	v_lshlrev_b32_e32 v0, 3, v43
	v_sub_u32_e32 v0, v2, v0
	ds_read_b64 v[44:45], v0
	v_add_u32_e32 v0, 0xe40, v50
	ds_read2_b64 v[4:7], v0 offset0:6 offset1:248
	v_add_u32_e32 v0, 0x1d80, v50
	ds_read2_b64 v[0:3], v0 offset0:2 offset1:244
.LBB0_17:
	s_or_b64 exec, exec, s[6:7]
	v_and_b32_e32 v51, 1, v36
	v_lshlrev_b32_e32 v52, 5, v51
	global_load_dwordx4 v[12:15], v52, s[12:13]
	global_load_dwordx4 v[8:11], v52, s[12:13] offset:16
	s_waitcnt vmcnt(0) lgkmcnt(0)
	s_barrier
	v_mul_f32_e32 v55, v13, v18
	v_mul_f32_e32 v57, v15, v30
	;; [unrolled: 1-line block ×10, first 2 shown]
	v_fmac_f32_e32 v57, v14, v31
	v_fma_f32 v62, v12, v28, -v62
	v_fmac_f32_e32 v52, v12, v29
	v_mul_f32_e32 v28, v15, v24
	v_mul_f32_e32 v29, v9, v20
	v_fmac_f32_e32 v59, v8, v27
	v_fmac_f32_e32 v55, v12, v19
	;; [unrolled: 1-line block ×3, first 2 shown]
	v_fma_f32 v30, v14, v30, -v56
	v_mul_f32_e32 v31, v15, v25
	v_mul_f32_e32 v56, v9, v21
	v_fma_f32 v26, v8, v26, -v58
	v_fmac_f32_e32 v28, v14, v25
	v_fma_f32 v25, v12, v18, -v54
	v_fma_f32 v22, v10, v22, -v60
	v_fmac_f32_e32 v29, v8, v21
	v_add_f32_e32 v19, v57, v59
	v_add_f32_e32 v21, v55, v61
	v_fma_f32 v27, v14, v24, -v31
	v_mul_f32_e32 v24, v11, v49
	v_fma_f32 v54, v8, v20, -v56
	v_add_f32_e32 v18, v30, v26
	v_add_f32_e32 v20, v25, v22
	v_fma_f32 v19, -0.5, v19, v17
	v_fma_f32 v21, -0.5, v21, v17
	v_add_f32_e32 v17, v17, v55
	v_mul_f32_e32 v58, v11, v48
	v_fma_f32 v60, v10, v48, -v24
	v_add_f32_e32 v23, v16, v25
	v_fma_f32 v18, -0.5, v18, v16
	v_fma_f32 v20, -0.5, v20, v16
	v_sub_f32_e32 v16, v25, v30
	v_sub_f32_e32 v24, v22, v26
	v_add_f32_e32 v17, v17, v57
	v_fmac_f32_e32 v58, v10, v49
	v_sub_f32_e32 v49, v30, v25
	v_sub_f32_e32 v56, v26, v22
	v_add_f32_e32 v64, v16, v24
	v_sub_f32_e32 v16, v55, v57
	v_sub_f32_e32 v24, v61, v59
	v_add_f32_e32 v17, v17, v59
	v_sub_f32_e32 v31, v55, v61
	v_sub_f32_e32 v48, v57, v59
	;; [unrolled: 1-line block ×3, first 2 shown]
	v_add_f32_e32 v23, v23, v30
	v_add_f32_e32 v49, v49, v56
	;; [unrolled: 1-line block ×3, first 2 shown]
	v_mov_b32_e32 v16, v18
	v_add_f32_e32 v24, v17, v61
	v_mov_b32_e32 v25, v20
	v_mov_b32_e32 v17, v19
	v_sub_f32_e32 v30, v30, v26
	v_add_f32_e32 v23, v23, v26
	v_fmac_f32_e32 v18, 0xbf737871, v31
	v_fmac_f32_e32 v20, 0x3f737871, v48
	;; [unrolled: 1-line block ×5, first 2 shown]
	v_mov_b32_e32 v26, v21
	v_fmac_f32_e32 v17, 0xbf737871, v63
	v_fmac_f32_e32 v18, 0xbf167918, v48
	;; [unrolled: 1-line block ×8, first 2 shown]
	v_sub_f32_e32 v31, v57, v55
	v_sub_f32_e32 v48, v59, v61
	v_fmac_f32_e32 v21, 0xbf737871, v30
	v_add_f32_e32 v30, v46, v62
	v_fmac_f32_e32 v26, 0xbf167918, v63
	v_add_f32_e32 v31, v31, v48
	;; [unrolled: 2-line block ×3, first 2 shown]
	v_fmac_f32_e32 v26, 0x3e9e377a, v31
	v_fmac_f32_e32 v21, 0x3e9e377a, v31
	v_add_f32_e32 v31, v30, v54
	v_add_f32_e32 v30, v27, v54
	v_fma_f32 v30, -0.5, v30, v46
	v_fmac_f32_e32 v20, 0x3e9e377a, v49
	v_fmac_f32_e32 v25, 0x3e9e377a, v49
	v_sub_f32_e32 v49, v52, v58
	v_mov_b32_e32 v48, v30
	v_add_f32_e32 v23, v23, v22
	v_sub_u32_e32 v22, 0, v53
	v_fmac_f32_e32 v19, 0x3e9e377a, v56
	v_fmac_f32_e32 v17, 0x3e9e377a, v56
	;; [unrolled: 1-line block ×3, first 2 shown]
	v_sub_f32_e32 v55, v28, v29
	v_sub_f32_e32 v53, v62, v27
	;; [unrolled: 1-line block ×3, first 2 shown]
	v_fmac_f32_e32 v30, 0xbf737871, v49
	v_fmac_f32_e32 v48, 0x3f167918, v55
	v_add_f32_e32 v53, v53, v56
	v_fmac_f32_e32 v30, 0xbf167918, v55
	v_fmac_f32_e32 v48, 0x3e9e377a, v53
	;; [unrolled: 1-line block ×3, first 2 shown]
	v_add_f32_e32 v53, v62, v60
	v_fma_f32 v46, -0.5, v53, v46
	v_sub_f32_e32 v53, v27, v62
	v_sub_f32_e32 v56, v54, v60
	v_add_f32_e32 v56, v53, v56
	v_mov_b32_e32 v53, v46
	v_fmac_f32_e32 v53, 0xbf737871, v55
	v_fmac_f32_e32 v46, 0x3f737871, v55
	v_add_f32_e32 v55, v31, v60
	v_add_f32_e32 v31, v47, v52
	;; [unrolled: 1-line block ×3, first 2 shown]
	v_fmac_f32_e32 v53, 0x3f167918, v49
	v_fmac_f32_e32 v46, 0xbf167918, v49
	v_add_f32_e32 v31, v31, v29
	v_fmac_f32_e32 v53, 0x3e9e377a, v56
	v_fmac_f32_e32 v46, 0x3e9e377a, v56
	v_add_f32_e32 v56, v31, v58
	v_add_f32_e32 v31, v28, v29
	v_fma_f32 v31, -0.5, v31, v47
	v_sub_f32_e32 v57, v62, v60
	v_mov_b32_e32 v49, v31
	v_fmac_f32_e32 v49, 0xbf737871, v57
	v_sub_f32_e32 v27, v27, v54
	v_sub_f32_e32 v54, v52, v28
	;; [unrolled: 1-line block ×3, first 2 shown]
	v_fmac_f32_e32 v31, 0x3f737871, v57
	v_fmac_f32_e32 v49, 0xbf167918, v27
	v_add_f32_e32 v54, v54, v59
	v_fmac_f32_e32 v31, 0x3f167918, v27
	v_fmac_f32_e32 v49, 0x3e9e377a, v54
	;; [unrolled: 1-line block ×3, first 2 shown]
	v_add_f32_e32 v54, v52, v58
	v_fmac_f32_e32 v47, -0.5, v54
	v_mov_b32_e32 v54, v47
	v_fmac_f32_e32 v54, 0x3f737871, v27
	v_sub_f32_e32 v28, v28, v52
	v_sub_f32_e32 v29, v29, v58
	v_fmac_f32_e32 v47, 0xbf737871, v27
	v_fmac_f32_e32 v54, 0xbf167918, v57
	v_add_f32_e32 v28, v28, v29
	v_fmac_f32_e32 v47, 0x3f167918, v57
	v_fmac_f32_e32 v54, 0x3e9e377a, v28
	;; [unrolled: 1-line block ×3, first 2 shown]
	v_lshrrev_b32_e32 v28, 1, v38
	v_lshrrev_b32_e32 v27, 1, v36
	v_mul_lo_u32 v28, v28, 10
	v_mul_u32_u24_e32 v27, 10, v27
	v_or_b32_e32 v27, v27, v51
	v_fmac_f32_e32 v16, 0x3e9e377a, v64
	v_lshl_add_u32 v27, v27, 3, 0
	v_fmac_f32_e32 v18, 0x3e9e377a, v64
	ds_write2_b64 v27, v[23:24], v[16:17] offset1:2
	ds_write2_b64 v27, v[25:26], v[20:21] offset0:4 offset1:6
	ds_write_b64 v27, v[18:19] offset:64
	v_or_b32_e32 v16, v28, v51
	v_lshl_add_u32 v16, v16, 3, 0
	ds_write2_b64 v16, v[55:56], v[48:49] offset1:2
	ds_write2_b64 v16, v[53:54], v[46:47] offset0:4 offset1:6
	ds_write_b64 v16, v[30:31] offset:64
	s_and_saveexec_b64 s[6:7], s[2:3]
	s_cbranch_execz .LBB0_19
; %bb.18:
	v_mul_f32_e32 v20, v4, v13
	v_mul_f32_e32 v19, v6, v15
	v_fmac_f32_e32 v20, v5, v12
	v_mul_f32_e32 v5, v5, v13
	v_mul_f32_e32 v18, v0, v9
	v_fmac_f32_e32 v19, v7, v14
	v_fma_f32 v4, v4, v12, -v5
	v_mul_f32_e32 v7, v7, v15
	v_fmac_f32_e32 v18, v1, v8
	v_add_f32_e32 v5, v44, v4
	v_fma_f32 v6, v6, v14, -v7
	v_mul_f32_e32 v1, v1, v9
	v_mul_f32_e32 v17, v2, v11
	v_add_f32_e32 v5, v5, v6
	v_fma_f32 v7, v0, v8, -v1
	v_mul_f32_e32 v1, v3, v11
	v_fmac_f32_e32 v17, v3, v10
	v_add_f32_e32 v0, v5, v7
	v_fma_f32 v8, v2, v10, -v1
	v_add_f32_e32 v15, v0, v8
	v_sub_f32_e32 v0, v19, v20
	v_sub_f32_e32 v1, v18, v17
	v_add_f32_e32 v0, v0, v1
	v_add_f32_e32 v1, v20, v17
	v_fma_f32 v1, -0.5, v1, v45
	v_sub_f32_e32 v9, v6, v7
	v_mov_b32_e32 v3, v1
	v_sub_f32_e32 v2, v4, v8
	v_fmac_f32_e32 v3, 0xbf737871, v9
	v_fmac_f32_e32 v1, 0x3f737871, v9
	;; [unrolled: 1-line block ×6, first 2 shown]
	v_sub_f32_e32 v0, v20, v19
	v_sub_f32_e32 v5, v17, v18
	v_add_f32_e32 v0, v0, v5
	v_add_f32_e32 v5, v19, v18
	;; [unrolled: 1-line block ×3, first 2 shown]
	v_fmac_f32_e32 v45, -0.5, v5
	v_mov_b32_e32 v5, v45
	v_fmac_f32_e32 v5, 0x3f737871, v2
	v_fmac_f32_e32 v45, 0xbf737871, v2
	v_fmac_f32_e32 v5, 0x3f167918, v9
	v_fmac_f32_e32 v45, 0xbf167918, v9
	v_fmac_f32_e32 v5, 0x3e9e377a, v0
	v_fmac_f32_e32 v45, 0x3e9e377a, v0
	v_sub_f32_e32 v0, v6, v4
	v_sub_f32_e32 v2, v7, v8
	v_add_f32_e32 v9, v0, v2
	v_add_f32_e32 v0, v4, v8
	v_sub_f32_e32 v4, v4, v6
	v_sub_f32_e32 v8, v8, v7
	v_add_f32_e32 v8, v4, v8
	v_add_f32_e32 v4, v6, v7
	v_lshrrev_b32_e32 v6, 1, v43
	v_mul_lo_u32 v6, v6, 10
	v_fma_f32 v0, -0.5, v0, v44
	v_sub_f32_e32 v11, v20, v17
	v_fmac_f32_e32 v44, -0.5, v4
	v_add_f32_e32 v16, v16, v19
	v_sub_f32_e32 v10, v19, v18
	v_mov_b32_e32 v2, v0
	v_mov_b32_e32 v4, v44
	v_fmac_f32_e32 v44, 0x3f737871, v11
	v_add_f32_e32 v16, v16, v18
	v_fmac_f32_e32 v2, 0x3f737871, v10
	v_fmac_f32_e32 v0, 0xbf737871, v10
	;; [unrolled: 1-line block ×4, first 2 shown]
	v_or_b32_e32 v6, v6, v51
	v_add_f32_e32 v16, v16, v17
	v_fmac_f32_e32 v2, 0xbf167918, v11
	v_fmac_f32_e32 v0, 0x3f167918, v11
	;; [unrolled: 1-line block ×4, first 2 shown]
	v_lshl_add_u32 v6, v6, 3, 0
	v_fmac_f32_e32 v2, 0x3e9e377a, v9
	v_fmac_f32_e32 v0, 0x3e9e377a, v9
	;; [unrolled: 1-line block ×3, first 2 shown]
	ds_write2_b64 v6, v[15:16], v[44:45] offset1:2
	ds_write2_b64 v6, v[0:1], v[2:3] offset0:4 offset1:6
	ds_write_b64 v6, v[4:5] offset:64
.LBB0_19:
	s_or_b64 exec, exec, s[6:7]
	s_movk_i32 s2, 0xcd
	v_mul_lo_u16_sdwa v0, v36, s2 dst_sel:DWORD dst_unused:UNUSED_PAD src0_sel:BYTE_0 src1_sel:DWORD
	v_lshrrev_b16_e32 v2, 11, v0
	v_mul_lo_u16_e32 v0, 10, v2
	v_sub_u16_e32 v3, v36, v0
	v_mov_b32_e32 v0, 10
	v_mul_u32_u24_sdwa v0, v3, v0 dst_sel:DWORD dst_unused:UNUSED_PAD src0_sel:BYTE_0 src1_sel:DWORD
	v_lshlrev_b32_e32 v0, 3, v0
	s_waitcnt lgkmcnt(0)
	s_barrier
	global_load_dwordx4 v[9:12], v0, s[12:13] offset:64
	global_load_dwordx4 v[13:16], v0, s[12:13] offset:80
	;; [unrolled: 1-line block ×5, first 2 shown]
	v_add_u32_e32 v8, v39, v22
	ds_read_b64 v[44:45], v50
	v_lshl_add_u32 v7, v43, 3, 0
	v_lshl_add_u32 v6, v42, 3, 0
	;; [unrolled: 1-line block ×4, first 2 shown]
	ds_read_b64 v[21:22], v8
	ds_read_b64 v[46:47], v7
	;; [unrolled: 1-line block ×5, first 2 shown]
	ds_read_b64 v[55:56], v50 offset:8800
	v_add_u32_e32 v1, 0x1400, v50
	v_add_u32_e32 v0, 0x1800, v50
	s_mov_b32 s2, 0x3f575c64
	s_mov_b32 s3, 0x3ed4b147
	;; [unrolled: 1-line block ×5, first 2 shown]
	v_mul_u32_u24_e32 v2, 0x370, v2
	s_waitcnt vmcnt(4) lgkmcnt(5)
	v_mul_f32_e32 v31, v10, v22
	v_mul_f32_e32 v39, v10, v21
	s_waitcnt lgkmcnt(4)
	v_mul_f32_e32 v10, v12, v47
	v_mul_f32_e32 v57, v12, v46
	v_fma_f32 v21, v9, v21, -v31
	v_fmac_f32_e32 v39, v9, v22
	v_fma_f32 v22, v11, v46, -v10
	v_fmac_f32_e32 v57, v11, v47
	ds_read2_b64 v[9:12], v1 offset0:20 offset1:130
	s_waitcnt vmcnt(3) lgkmcnt(4)
	v_mul_f32_e32 v31, v14, v49
	v_mul_f32_e32 v46, v14, v48
	s_waitcnt lgkmcnt(3)
	v_mul_f32_e32 v14, v16, v52
	v_mul_f32_e32 v47, v16, v51
	v_fma_f32 v31, v13, v48, -v31
	v_fmac_f32_e32 v46, v13, v49
	v_fma_f32 v48, v15, v51, -v14
	v_fmac_f32_e32 v47, v15, v52
	ds_read2_b64 v[13:16], v0 offset0:112 offset1:222
	s_waitcnt vmcnt(2) lgkmcnt(1)
	v_mul_f32_e32 v51, v10, v20
	v_mul_f32_e32 v20, v9, v20
	;; [unrolled: 1-line block ×4, first 2 shown]
	v_fma_f32 v51, v9, v19, -v51
	v_fmac_f32_e32 v20, v10, v19
	s_waitcnt vmcnt(1) lgkmcnt(0)
	v_mul_f32_e32 v19, v13, v26
	s_waitcnt vmcnt(0)
	v_mul_f32_e32 v9, v16, v28
	v_mul_f32_e32 v10, v56, v30
	;; [unrolled: 1-line block ×3, first 2 shown]
	v_fma_f32 v49, v17, v53, -v49
	v_fmac_f32_e32 v18, v17, v54
	v_mul_f32_e32 v17, v11, v24
	v_mul_f32_e32 v24, v14, v26
	;; [unrolled: 1-line block ×3, first 2 shown]
	v_fmac_f32_e32 v19, v14, v25
	v_fma_f32 v14, v15, v27, -v9
	v_fma_f32 v9, v55, v29, -v10
	v_add_f32_e32 v10, v21, v44
	v_add_f32_e32 v15, v39, v45
	;; [unrolled: 1-line block ×10, first 2 shown]
	v_fma_f32 v11, v11, v23, -v52
	v_fmac_f32_e32 v17, v12, v23
	v_mul_f32_e32 v12, v55, v30
	v_add_f32_e32 v10, v10, v51
	v_add_f32_e32 v15, v15, v20
	v_fma_f32 v13, v13, v25, -v24
	v_fmac_f32_e32 v12, v56, v29
	v_add_f32_e32 v10, v10, v11
	v_add_f32_e32 v15, v15, v17
	v_fmac_f32_e32 v26, v16, v27
	v_add_f32_e32 v16, v21, v9
	v_sub_f32_e32 v21, v21, v9
	v_sub_f32_e32 v24, v39, v12
	v_add_f32_e32 v10, v10, v13
	v_add_f32_e32 v15, v15, v19
	v_mul_f32_e32 v25, 0xbf0a6770, v24
	v_add_f32_e32 v10, v10, v14
	v_add_f32_e32 v15, v15, v26
	v_mul_f32_e32 v28, 0xbf68dda4, v24
	v_mul_f32_e32 v30, 0xbf68dda4, v21
	;; [unrolled: 1-line block ×6, first 2 shown]
	v_add_f32_e32 v23, v39, v12
	v_fma_f32 v27, v16, s2, -v25
	v_add_f32_e32 v9, v10, v9
	v_add_f32_e32 v10, v15, v12
	v_mul_f32_e32 v12, 0xbf0a6770, v21
	v_fmac_f32_e32 v25, 0x3f575c64, v16
	v_fma_f32 v29, v16, s3, -v28
	v_mov_b32_e32 v39, v30
	v_fmac_f32_e32 v28, 0x3ed4b147, v16
	v_fma_f32 v53, v16, s6, -v52
	v_mov_b32_e32 v55, v54
	v_fmac_f32_e32 v52, 0xbe11bafb, v16
	v_fma_f32 v58, v16, s7, -v56
	v_fmac_f32_e32 v56, 0xbf27a4f4, v16
	v_fma_f32 v59, v16, s8, -v24
	v_fmac_f32_e32 v24, 0xbf75a155, v16
	v_mul_f32_e32 v16, 0xbf4178ce, v21
	v_mul_f32_e32 v21, 0xbe903f40, v21
	v_mov_b32_e32 v15, v12
	v_fmac_f32_e32 v39, 0x3ed4b147, v23
	v_fmac_f32_e32 v55, 0xbe11bafb, v23
	v_mov_b32_e32 v60, v16
	v_mov_b32_e32 v61, v21
	v_fmac_f32_e32 v15, 0x3f575c64, v23
	v_fma_f32 v12, v23, s2, -v12
	v_fma_f32 v30, v23, s3, -v30
	;; [unrolled: 1-line block ×3, first 2 shown]
	v_fmac_f32_e32 v60, 0xbf27a4f4, v23
	v_fma_f32 v16, v23, s7, -v16
	v_fmac_f32_e32 v61, 0xbf75a155, v23
	v_fma_f32 v21, v23, s8, -v21
	v_add_f32_e32 v23, v27, v44
	v_add_f32_e32 v25, v25, v44
	v_add_f32_e32 v27, v29, v44
	v_add_f32_e32 v29, v39, v45
	v_add_f32_e32 v28, v28, v44
	v_add_f32_e32 v39, v53, v44
	v_add_f32_e32 v53, v55, v45
	v_add_f32_e32 v52, v52, v44
	v_add_f32_e32 v55, v58, v44
	v_add_f32_e32 v56, v56, v44
	v_add_f32_e32 v59, v59, v44
	v_add_f32_e32 v24, v24, v44
	v_add_f32_e32 v44, v22, v14
	v_sub_f32_e32 v14, v22, v14
	v_add_f32_e32 v22, v57, v26
	v_sub_f32_e32 v26, v57, v26
	v_add_f32_e32 v15, v15, v45
	v_add_f32_e32 v12, v12, v45
	;; [unrolled: 1-line block ×8, first 2 shown]
	v_mul_f32_e32 v45, 0xbf68dda4, v26
	v_fma_f32 v57, v44, s3, -v45
	v_add_f32_e32 v23, v57, v23
	v_mul_f32_e32 v57, 0xbf68dda4, v14
	v_fmac_f32_e32 v45, 0x3ed4b147, v44
	v_add_f32_e32 v25, v45, v25
	v_fma_f32 v45, v22, s3, -v57
	v_add_f32_e32 v12, v45, v12
	v_mul_f32_e32 v45, 0xbf4178ce, v26
	v_mov_b32_e32 v61, v57
	v_fma_f32 v57, v44, s7, -v45
	v_add_f32_e32 v27, v57, v27
	v_mul_f32_e32 v57, 0xbf4178ce, v14
	v_fmac_f32_e32 v45, 0xbf27a4f4, v44
	v_add_f32_e32 v28, v45, v28
	v_fma_f32 v45, v22, s7, -v57
	v_fmac_f32_e32 v61, 0x3ed4b147, v22
	v_add_f32_e32 v30, v45, v30
	v_mul_f32_e32 v45, 0x3e903f40, v26
	v_add_f32_e32 v15, v61, v15
	v_mov_b32_e32 v61, v57
	v_fma_f32 v57, v44, s8, -v45
	v_add_f32_e32 v39, v57, v39
	v_mul_f32_e32 v57, 0x3e903f40, v14
	v_fmac_f32_e32 v45, 0xbf75a155, v44
	v_add_f32_e32 v45, v45, v52
	v_fma_f32 v52, v22, s8, -v57
	v_fmac_f32_e32 v61, 0xbf27a4f4, v22
	v_add_f32_e32 v52, v52, v54
	v_mul_f32_e32 v54, 0x3f7d64f0, v26
	v_add_f32_e32 v29, v61, v29
	v_mov_b32_e32 v61, v57
	v_fma_f32 v57, v44, s6, -v54
	v_fmac_f32_e32 v61, 0xbf75a155, v22
	v_add_f32_e32 v55, v57, v55
	v_mul_f32_e32 v57, 0x3f7d64f0, v14
	v_fmac_f32_e32 v54, 0xbe11bafb, v44
	v_mul_f32_e32 v14, 0x3f0a6770, v14
	v_add_f32_e32 v53, v61, v53
	v_mov_b32_e32 v61, v57
	v_add_f32_e32 v54, v54, v56
	v_fma_f32 v56, v22, s6, -v57
	v_mul_f32_e32 v26, 0x3f0a6770, v26
	v_mov_b32_e32 v57, v14
	v_fmac_f32_e32 v61, 0xbe11bafb, v22
	v_add_f32_e32 v16, v56, v16
	v_fma_f32 v56, v44, s2, -v26
	v_fmac_f32_e32 v57, 0x3f575c64, v22
	v_fmac_f32_e32 v26, 0x3f575c64, v44
	v_fma_f32 v14, v22, s2, -v14
	v_add_f32_e32 v22, v46, v19
	v_sub_f32_e32 v19, v46, v19
	v_add_f32_e32 v24, v26, v24
	v_add_f32_e32 v14, v14, v21
	;; [unrolled: 1-line block ×3, first 2 shown]
	v_mul_f32_e32 v26, 0xbf7d64f0, v19
	v_sub_f32_e32 v13, v31, v13
	v_fma_f32 v31, v21, s6, -v26
	v_add_f32_e32 v23, v31, v23
	v_mul_f32_e32 v31, 0xbf7d64f0, v13
	v_fmac_f32_e32 v26, 0xbe11bafb, v21
	v_add_f32_e32 v25, v26, v25
	v_fma_f32 v26, v22, s6, -v31
	v_add_f32_e32 v12, v26, v12
	v_mul_f32_e32 v26, 0x3e903f40, v19
	v_mov_b32_e32 v44, v31
	v_fma_f32 v31, v21, s8, -v26
	v_add_f32_e32 v27, v31, v27
	v_mul_f32_e32 v31, 0x3e903f40, v13
	v_fmac_f32_e32 v26, 0xbf75a155, v21
	v_add_f32_e32 v26, v26, v28
	v_fma_f32 v28, v22, s8, -v31
	v_fmac_f32_e32 v44, 0xbe11bafb, v22
	v_add_f32_e32 v28, v28, v30
	v_mul_f32_e32 v30, 0x3f68dda4, v19
	v_add_f32_e32 v15, v44, v15
	v_mov_b32_e32 v44, v31
	v_fma_f32 v31, v21, s3, -v30
	v_fmac_f32_e32 v44, 0xbf75a155, v22
	v_add_f32_e32 v31, v31, v39
	v_mul_f32_e32 v39, 0x3f68dda4, v13
	v_add_f32_e32 v29, v44, v29
	v_mov_b32_e32 v44, v39
	v_fmac_f32_e32 v30, 0x3ed4b147, v21
	v_fma_f32 v39, v22, s3, -v39
	v_fmac_f32_e32 v44, 0x3ed4b147, v22
	v_add_f32_e32 v30, v30, v45
	v_add_f32_e32 v39, v39, v52
	v_mul_f32_e32 v45, 0xbf0a6770, v19
	v_mul_f32_e32 v52, 0xbf0a6770, v13
	v_add_f32_e32 v44, v44, v53
	v_fma_f32 v46, v21, s2, -v45
	v_mov_b32_e32 v53, v52
	v_fmac_f32_e32 v45, 0x3f575c64, v21
	v_fma_f32 v52, v22, s2, -v52
	v_mul_f32_e32 v19, 0xbf4178ce, v19
	v_mul_f32_e32 v13, 0xbf4178ce, v13
	v_add_f32_e32 v45, v45, v54
	v_add_f32_e32 v16, v52, v16
	v_fma_f32 v52, v21, s7, -v19
	v_mov_b32_e32 v54, v13
	v_fmac_f32_e32 v19, 0xbf27a4f4, v21
	v_fma_f32 v13, v22, s7, -v13
	v_add_f32_e32 v21, v47, v17
	v_sub_f32_e32 v17, v47, v17
	v_fmac_f32_e32 v53, 0x3f575c64, v22
	v_fmac_f32_e32 v54, 0xbf27a4f4, v22
	v_add_f32_e32 v13, v13, v14
	v_add_f32_e32 v14, v48, v11
	v_mul_f32_e32 v22, 0xbf4178ce, v17
	v_add_f32_e32 v19, v19, v24
	v_sub_f32_e32 v11, v48, v11
	v_fma_f32 v24, v14, s7, -v22
	v_add_f32_e32 v23, v24, v23
	v_mul_f32_e32 v24, 0xbf4178ce, v11
	v_mov_b32_e32 v47, v24
	v_fma_f32 v24, v21, s7, -v24
	v_fmac_f32_e32 v22, 0xbf27a4f4, v14
	v_add_f32_e32 v24, v24, v12
	v_mul_f32_e32 v12, 0x3f7d64f0, v17
	v_add_f32_e32 v22, v22, v25
	v_fma_f32 v25, v14, s6, -v12
	v_add_f32_e32 v25, v25, v27
	v_mul_f32_e32 v27, 0x3f7d64f0, v11
	v_fmac_f32_e32 v12, 0xbe11bafb, v14
	v_fmac_f32_e32 v47, 0xbf27a4f4, v21
	v_add_f32_e32 v26, v12, v26
	v_fma_f32 v12, v21, s6, -v27
	v_add_f32_e32 v15, v47, v15
	v_mov_b32_e32 v47, v27
	v_add_f32_e32 v27, v12, v28
	v_mul_f32_e32 v12, 0xbf0a6770, v17
	v_fma_f32 v28, v14, s2, -v12
	v_add_f32_e32 v28, v28, v31
	v_mul_f32_e32 v31, 0xbf0a6770, v11
	v_fmac_f32_e32 v12, 0x3f575c64, v14
	v_fmac_f32_e32 v47, 0xbe11bafb, v21
	v_add_f32_e32 v30, v12, v30
	v_fma_f32 v12, v21, s2, -v31
	v_add_f32_e32 v29, v47, v29
	v_mov_b32_e32 v47, v31
	v_add_f32_e32 v31, v12, v39
	v_mul_f32_e32 v12, 0xbe903f40, v17
	v_add_f32_e32 v46, v46, v55
	v_fma_f32 v39, v14, s8, -v12
	v_add_f32_e32 v39, v39, v46
	v_mul_f32_e32 v46, 0xbe903f40, v11
	v_fmac_f32_e32 v12, 0xbf75a155, v14
	v_fmac_f32_e32 v47, 0x3f575c64, v21
	v_add_f32_e32 v45, v12, v45
	v_fma_f32 v12, v21, s8, -v46
	v_add_f32_e32 v56, v56, v59
	v_add_f32_e32 v44, v47, v44
	v_mov_b32_e32 v47, v46
	v_add_f32_e32 v46, v12, v16
	v_mul_f32_e32 v12, 0x3f68dda4, v17
	v_add_f32_e32 v52, v52, v56
	v_fma_f32 v16, v14, s3, -v12
	v_mul_f32_e32 v11, 0x3f68dda4, v11
	v_add_f32_e32 v57, v57, v60
	v_add_f32_e32 v48, v16, v52
	v_mov_b32_e32 v16, v11
	v_add_f32_e32 v58, v61, v58
	v_add_f32_e32 v54, v54, v57
	v_fmac_f32_e32 v16, 0x3ed4b147, v21
	v_fma_f32 v11, v21, s3, -v11
	v_add_f32_e32 v55, v49, v51
	v_sub_f32_e32 v49, v49, v51
	v_sub_f32_e32 v51, v18, v20
	v_add_f32_e32 v53, v53, v58
	v_fmac_f32_e32 v47, 0xbf75a155, v21
	v_add_f32_e32 v52, v16, v54
	v_fmac_f32_e32 v12, 0x3ed4b147, v14
	v_add_f32_e32 v54, v11, v13
	v_mul_f32_e32 v13, 0xbe903f40, v51
	v_mul_f32_e32 v14, 0xbe903f40, v49
	v_add_f32_e32 v47, v47, v53
	v_add_f32_e32 v53, v12, v19
	;; [unrolled: 1-line block ×3, first 2 shown]
	v_fma_f32 v11, v55, s8, -v13
	v_mov_b32_e32 v12, v14
	v_fmac_f32_e32 v13, 0xbf75a155, v55
	v_fmac_f32_e32 v12, 0xbf75a155, v56
	v_add_f32_e32 v13, v13, v22
	v_mul_f32_e32 v17, 0x3f0a6770, v51
	v_mul_f32_e32 v18, 0x3f0a6770, v49
	;; [unrolled: 1-line block ×4, first 2 shown]
	v_add_f32_e32 v12, v12, v15
	v_fma_f32 v15, v55, s2, -v17
	v_mov_b32_e32 v16, v18
	v_fmac_f32_e32 v17, 0x3f575c64, v55
	v_fma_f32 v19, v55, s7, -v21
	v_mov_b32_e32 v20, v22
	v_fmac_f32_e32 v21, 0xbf27a4f4, v55
	v_fma_f32 v22, v56, s7, -v22
	v_fma_f32 v14, v56, s8, -v14
	v_fmac_f32_e32 v16, 0x3f575c64, v56
	v_add_f32_e32 v17, v17, v26
	v_add_f32_e32 v21, v21, v30
	;; [unrolled: 1-line block ×3, first 2 shown]
	v_mul_f32_e32 v26, 0x3f68dda4, v49
	v_mul_f32_e32 v30, 0xbf7d64f0, v49
	v_mov_b32_e32 v31, 3
	v_add_f32_e32 v14, v14, v24
	v_add_f32_e32 v15, v15, v25
	;; [unrolled: 1-line block ×3, first 2 shown]
	v_fma_f32 v18, v56, s2, -v18
	v_add_f32_e32 v19, v19, v28
	v_mul_f32_e32 v25, 0x3f68dda4, v51
	v_mov_b32_e32 v24, v26
	v_mul_f32_e32 v29, 0xbf7d64f0, v51
	v_mov_b32_e32 v28, v30
	v_lshlrev_b32_sdwa v3, v31, v3 dst_sel:DWORD dst_unused:UNUSED_PAD src0_sel:DWORD src1_sel:BYTE_0
	v_add_f32_e32 v11, v11, v23
	v_add_f32_e32 v18, v18, v27
	v_fmac_f32_e32 v20, 0xbf27a4f4, v56
	v_fma_f32 v23, v55, s3, -v25
	v_fmac_f32_e32 v24, 0x3ed4b147, v56
	v_fmac_f32_e32 v25, 0x3ed4b147, v55
	v_fma_f32 v26, v56, s3, -v26
	v_fma_f32 v27, v55, s6, -v29
	v_fmac_f32_e32 v28, 0xbe11bafb, v56
	v_fmac_f32_e32 v29, 0xbe11bafb, v55
	v_fma_f32 v30, v56, s6, -v30
	v_add3_u32 v2, 0, v2, v3
	v_add_f32_e32 v20, v20, v44
	v_add_f32_e32 v23, v23, v39
	;; [unrolled: 1-line block ×9, first 2 shown]
	s_barrier
	ds_write2_b64 v2, v[9:10], v[11:12] offset1:10
	ds_write2_b64 v2, v[15:16], v[19:20] offset0:20 offset1:30
	ds_write2_b64 v2, v[23:24], v[27:28] offset0:40 offset1:50
	;; [unrolled: 1-line block ×4, first 2 shown]
	ds_write_b64 v2, v[13:14] offset:800
	v_mul_u32_u24_e32 v2, 10, v36
	v_lshlrev_b32_e32 v2, 3, v2
	s_waitcnt lgkmcnt(0)
	s_barrier
	global_load_dwordx4 v[9:12], v2, s[12:13] offset:864
	global_load_dwordx4 v[13:16], v2, s[12:13] offset:880
	;; [unrolled: 1-line block ×5, first 2 shown]
	ds_read_b64 v[2:3], v50
	ds_read_b64 v[29:30], v5
	;; [unrolled: 1-line block ×4, first 2 shown]
	ds_read2_b64 v[44:47], v1 offset0:20 offset1:130
	ds_read_b64 v[53:54], v6
	ds_read_b64 v[55:56], v7
	ds_read_b64 v[57:58], v50 offset:8800
	s_waitcnt vmcnt(4) lgkmcnt(5)
	v_mul_f32_e32 v31, v10, v49
	v_mul_f32_e32 v39, v10, v48
	v_fma_f32 v31, v9, v48, -v31
	v_fmac_f32_e32 v39, v9, v49
	s_waitcnt lgkmcnt(1)
	v_mul_f32_e32 v9, v12, v56
	v_mul_f32_e32 v49, v12, v55
	v_fma_f32 v48, v11, v55, -v9
	v_fmac_f32_e32 v49, v11, v56
	ds_read2_b64 v[9:12], v0 offset0:112 offset1:222
	s_waitcnt vmcnt(3)
	v_mul_f32_e32 v55, v14, v54
	v_mul_f32_e32 v14, v14, v53
	v_fma_f32 v55, v13, v53, -v55
	v_fmac_f32_e32 v14, v13, v54
	v_mul_f32_e32 v13, v16, v30
	v_mul_f32_e32 v16, v16, v29
	v_fma_f32 v13, v15, v29, -v13
	v_fmac_f32_e32 v16, v15, v30
	s_waitcnt vmcnt(2)
	v_mul_f32_e32 v15, v18, v52
	v_mul_f32_e32 v18, v18, v51
	v_fma_f32 v15, v17, v51, -v15
	v_fmac_f32_e32 v18, v17, v52
	v_mul_f32_e32 v17, v45, v20
	v_mul_f32_e32 v20, v44, v20
	v_fma_f32 v17, v44, v19, -v17
	v_fmac_f32_e32 v20, v45, v19
	s_waitcnt vmcnt(1)
	v_mul_f32_e32 v19, v47, v22
	v_mul_f32_e32 v22, v46, v22
	v_fma_f32 v19, v46, v21, -v19
	v_fmac_f32_e32 v22, v47, v21
	s_waitcnt lgkmcnt(0)
	v_mul_f32_e32 v21, v10, v24
	v_fma_f32 v21, v9, v23, -v21
	v_mul_f32_e32 v24, v9, v24
	s_waitcnt vmcnt(0)
	v_mul_f32_e32 v9, v12, v26
	v_fmac_f32_e32 v24, v10, v23
	v_fma_f32 v23, v11, v25, -v9
	v_mul_f32_e32 v11, v11, v26
	v_mul_f32_e32 v9, v58, v28
	v_fmac_f32_e32 v11, v12, v25
	v_fma_f32 v12, v57, v27, -v9
	v_add_f32_e32 v9, v31, v2
	v_add_f32_e32 v10, v39, v3
	;; [unrolled: 1-line block ×14, first 2 shown]
	v_mul_f32_e32 v25, v57, v28
	v_add_f32_e32 v9, v9, v21
	v_add_f32_e32 v10, v10, v24
	v_fmac_f32_e32 v25, v58, v27
	v_add_f32_e32 v9, v9, v23
	v_add_f32_e32 v10, v10, v11
	;; [unrolled: 1-line block ×6, first 2 shown]
	v_sub_f32_e32 v12, v31, v12
	v_sub_f32_e32 v25, v39, v25
	v_mul_f32_e32 v28, 0xbf0a6770, v25
	v_mul_f32_e32 v30, 0xbf0a6770, v12
	;; [unrolled: 1-line block ×10, first 2 shown]
	v_fma_f32 v29, v26, s2, -v28
	v_mov_b32_e32 v31, v30
	v_fmac_f32_e32 v28, 0x3f575c64, v26
	v_fma_f32 v44, v26, s3, -v39
	v_mov_b32_e32 v46, v45
	v_fmac_f32_e32 v39, 0x3ed4b147, v26
	;; [unrolled: 3-line block ×4, first 2 shown]
	v_fma_f32 v59, v26, s8, -v25
	v_fmac_f32_e32 v25, 0xbf75a155, v26
	v_mov_b32_e32 v26, v12
	v_add_f32_e32 v29, v29, v2
	v_fmac_f32_e32 v31, 0x3f575c64, v27
	v_add_f32_e32 v28, v28, v2
	v_fma_f32 v30, v27, s2, -v30
	v_add_f32_e32 v44, v44, v2
	v_fmac_f32_e32 v46, 0x3ed4b147, v27
	v_add_f32_e32 v39, v39, v2
	v_fma_f32 v45, v27, s3, -v45
	;; [unrolled: 4-line block ×5, first 2 shown]
	v_add_f32_e32 v25, v49, v11
	v_sub_f32_e32 v11, v49, v11
	v_add_f32_e32 v31, v31, v3
	v_add_f32_e32 v30, v30, v3
	;; [unrolled: 1-line block ×11, first 2 shown]
	v_mul_f32_e32 v27, 0xbf68dda4, v11
	v_sub_f32_e32 v23, v48, v23
	v_fma_f32 v48, v12, s3, -v27
	v_add_f32_e32 v29, v48, v29
	v_mul_f32_e32 v48, 0xbf68dda4, v23
	v_fmac_f32_e32 v27, 0x3ed4b147, v12
	v_add_f32_e32 v27, v27, v28
	v_fma_f32 v28, v25, s3, -v48
	v_add_f32_e32 v28, v28, v30
	v_mul_f32_e32 v30, 0xbf4178ce, v11
	v_mov_b32_e32 v49, v48
	v_fma_f32 v48, v12, s7, -v30
	v_fmac_f32_e32 v49, 0x3ed4b147, v25
	v_add_f32_e32 v44, v48, v44
	v_mul_f32_e32 v48, 0xbf4178ce, v23
	v_fmac_f32_e32 v30, 0xbf27a4f4, v12
	v_add_f32_e32 v31, v49, v31
	v_mov_b32_e32 v49, v48
	v_add_f32_e32 v30, v30, v39
	v_fma_f32 v39, v25, s7, -v48
	v_fmac_f32_e32 v49, 0xbf27a4f4, v25
	v_add_f32_e32 v39, v39, v45
	v_mul_f32_e32 v45, 0x3e903f40, v11
	v_add_f32_e32 v46, v49, v46
	v_fma_f32 v48, v12, s8, -v45
	v_mul_f32_e32 v49, 0x3e903f40, v23
	v_fmac_f32_e32 v45, 0xbf75a155, v12
	v_add_f32_e32 v48, v48, v51
	v_mov_b32_e32 v51, v49
	v_add_f32_e32 v45, v45, v47
	v_fma_f32 v47, v25, s8, -v49
	v_mul_f32_e32 v49, 0x3f7d64f0, v11
	v_fmac_f32_e32 v51, 0xbf75a155, v25
	v_add_f32_e32 v47, v47, v52
	v_fma_f32 v52, v12, s6, -v49
	v_fmac_f32_e32 v49, 0xbe11bafb, v12
	v_mul_f32_e32 v11, 0x3f0a6770, v11
	v_add_f32_e32 v51, v51, v53
	v_mul_f32_e32 v53, 0x3f7d64f0, v23
	v_add_f32_e32 v49, v49, v54
	v_fma_f32 v54, v12, s2, -v11
	v_mul_f32_e32 v23, 0x3f0a6770, v23
	v_fmac_f32_e32 v11, 0x3f575c64, v12
	v_add_f32_e32 v52, v52, v56
	v_mov_b32_e32 v56, v53
	v_fma_f32 v53, v25, s6, -v53
	v_add_f32_e32 v2, v11, v2
	v_fma_f32 v11, v25, s2, -v23
	v_add_f32_e32 v12, v14, v24
	v_sub_f32_e32 v14, v14, v24
	v_add_f32_e32 v53, v53, v57
	v_mov_b32_e32 v57, v23
	v_add_f32_e32 v3, v11, v3
	v_add_f32_e32 v11, v55, v21
	v_sub_f32_e32 v21, v55, v21
	v_mul_f32_e32 v23, 0xbf7d64f0, v14
	v_fmac_f32_e32 v56, 0xbe11bafb, v25
	v_fmac_f32_e32 v57, 0x3f575c64, v25
	v_fma_f32 v24, v11, s6, -v23
	v_mul_f32_e32 v25, 0xbf7d64f0, v21
	v_add_f32_e32 v24, v24, v29
	v_mov_b32_e32 v29, v25
	v_fmac_f32_e32 v23, 0xbe11bafb, v11
	v_fmac_f32_e32 v29, 0xbe11bafb, v12
	v_add_f32_e32 v23, v23, v27
	v_fma_f32 v25, v12, s6, -v25
	v_mul_f32_e32 v27, 0x3e903f40, v14
	v_add_f32_e32 v29, v29, v31
	v_add_f32_e32 v25, v25, v28
	v_fma_f32 v28, v11, s8, -v27
	v_mul_f32_e32 v31, 0x3e903f40, v21
	v_add_f32_e32 v28, v28, v44
	v_mov_b32_e32 v44, v31
	v_fmac_f32_e32 v27, 0xbf75a155, v11
	v_fmac_f32_e32 v44, 0xbf75a155, v12
	v_add_f32_e32 v27, v27, v30
	v_fma_f32 v30, v12, s8, -v31
	v_mul_f32_e32 v31, 0x3f68dda4, v14
	v_add_f32_e32 v44, v44, v46
	v_add_f32_e32 v30, v30, v39
	;; [unrolled: 11-line block ×3, first 2 shown]
	v_fma_f32 v47, v11, s2, -v46
	v_mul_f32_e32 v51, 0xbf0a6770, v21
	v_fmac_f32_e32 v46, 0x3f575c64, v11
	v_mul_f32_e32 v14, 0xbf4178ce, v14
	v_add_f32_e32 v47, v47, v52
	v_mov_b32_e32 v52, v51
	v_add_f32_e32 v46, v46, v49
	v_fma_f32 v49, v12, s2, -v51
	v_fma_f32 v51, v11, s7, -v14
	v_mul_f32_e32 v21, 0xbf4178ce, v21
	v_fmac_f32_e32 v14, 0xbf27a4f4, v11
	v_add_f32_e32 v49, v49, v53
	v_mov_b32_e32 v53, v21
	v_add_f32_e32 v2, v14, v2
	v_fma_f32 v11, v12, s7, -v21
	v_sub_f32_e32 v14, v16, v22
	v_fmac_f32_e32 v52, 0x3f575c64, v12
	v_fmac_f32_e32 v53, 0xbf27a4f4, v12
	v_add_f32_e32 v3, v11, v3
	v_add_f32_e32 v11, v13, v19
	;; [unrolled: 1-line block ×3, first 2 shown]
	v_sub_f32_e32 v13, v13, v19
	v_mul_f32_e32 v16, 0xbf4178ce, v14
	v_fma_f32 v19, v11, s7, -v16
	v_mul_f32_e32 v21, 0xbf4178ce, v13
	v_fmac_f32_e32 v16, 0xbf27a4f4, v11
	v_mov_b32_e32 v22, v21
	v_add_f32_e32 v16, v16, v23
	v_fma_f32 v21, v12, s7, -v21
	v_mul_f32_e32 v23, 0x3f7d64f0, v14
	v_add_f32_e32 v19, v19, v24
	v_add_f32_e32 v21, v21, v25
	v_fma_f32 v24, v11, s6, -v23
	v_mul_f32_e32 v25, 0x3f7d64f0, v13
	v_fmac_f32_e32 v23, 0xbe11bafb, v11
	v_fmac_f32_e32 v22, 0xbf27a4f4, v12
	v_add_f32_e32 v24, v24, v28
	v_mov_b32_e32 v28, v25
	v_add_f32_e32 v23, v23, v27
	v_fma_f32 v25, v12, s6, -v25
	v_mul_f32_e32 v27, 0xbf0a6770, v14
	v_add_f32_e32 v22, v22, v29
	v_add_f32_e32 v25, v25, v30
	v_fma_f32 v29, v11, s2, -v27
	v_mul_f32_e32 v30, 0xbf0a6770, v13
	v_add_f32_e32 v29, v29, v39
	v_mov_b32_e32 v39, v30
	v_fmac_f32_e32 v27, 0x3f575c64, v11
	v_fma_f32 v30, v12, s2, -v30
	v_fmac_f32_e32 v28, 0xbe11bafb, v12
	v_fmac_f32_e32 v39, 0x3f575c64, v12
	v_add_f32_e32 v27, v27, v31
	v_add_f32_e32 v30, v30, v45
	v_mul_f32_e32 v31, 0xbe903f40, v14
	v_mul_f32_e32 v45, 0xbe903f40, v13
	;; [unrolled: 1-line block ×3, first 2 shown]
	v_add_f32_e32 v54, v54, v59
	v_add_f32_e32 v26, v57, v26
	;; [unrolled: 1-line block ×4, first 2 shown]
	v_fma_f32 v44, v11, s8, -v31
	v_fmac_f32_e32 v31, 0xbf75a155, v11
	v_mul_f32_e32 v14, 0x3f68dda4, v14
	v_mov_b32_e32 v48, v13
	v_add_f32_e32 v51, v51, v54
	v_add_f32_e32 v26, v53, v26
	;; [unrolled: 1-line block ×3, first 2 shown]
	v_fma_f32 v46, v11, s3, -v14
	v_fmac_f32_e32 v48, 0x3ed4b147, v12
	v_fmac_f32_e32 v14, 0x3ed4b147, v11
	v_sub_f32_e32 v54, v18, v20
	v_add_f32_e32 v44, v44, v47
	v_mov_b32_e32 v47, v45
	v_fma_f32 v45, v12, s8, -v45
	v_add_f32_e32 v46, v46, v51
	v_add_f32_e32 v26, v48, v26
	;; [unrolled: 1-line block ×3, first 2 shown]
	v_fma_f32 v2, v12, s3, -v13
	v_add_f32_e32 v51, v15, v17
	v_mul_f32_e32 v11, 0xbe903f40, v54
	v_add_f32_e32 v56, v56, v58
	v_add_f32_e32 v45, v45, v49
	;; [unrolled: 1-line block ×3, first 2 shown]
	v_sub_f32_e32 v53, v15, v17
	v_fma_f32 v2, v51, s8, -v11
	v_fmac_f32_e32 v11, 0xbf75a155, v51
	v_add_f32_e32 v52, v52, v56
	v_fmac_f32_e32 v47, 0xbf75a155, v12
	v_add_f32_e32 v11, v11, v16
	v_mul_f32_e32 v16, 0x3f0a6770, v53
	v_add_f32_e32 v47, v47, v52
	v_add_f32_e32 v52, v18, v20
	v_mul_f32_e32 v12, 0xbe903f40, v53
	v_mul_f32_e32 v15, 0x3f0a6770, v54
	v_mov_b32_e32 v14, v16
	v_add_f32_e32 v2, v2, v19
	v_mov_b32_e32 v3, v12
	v_fma_f32 v13, v51, s2, -v15
	v_fmac_f32_e32 v14, 0x3f575c64, v52
	v_mul_f32_e32 v19, 0xbf4178ce, v54
	v_mul_f32_e32 v20, 0xbf4178ce, v53
	v_fmac_f32_e32 v3, 0xbf75a155, v52
	v_add_f32_e32 v13, v13, v24
	v_add_f32_e32 v14, v14, v28
	v_fmac_f32_e32 v15, 0x3f575c64, v51
	v_fma_f32 v17, v51, s7, -v19
	v_mov_b32_e32 v18, v20
	v_fmac_f32_e32 v19, 0xbf27a4f4, v51
	v_mul_f32_e32 v24, 0x3f68dda4, v53
	v_mul_f32_e32 v28, 0xbf7d64f0, v53
	v_add_f32_e32 v3, v3, v22
	v_fma_f32 v12, v52, s8, -v12
	v_add_f32_e32 v15, v15, v23
	v_fma_f32 v16, v52, s2, -v16
	v_add_f32_e32 v17, v17, v29
	v_fmac_f32_e32 v18, 0xbf27a4f4, v52
	v_add_f32_e32 v19, v19, v27
	v_mul_f32_e32 v23, 0x3f68dda4, v54
	v_mov_b32_e32 v22, v24
	v_mul_f32_e32 v27, 0xbf7d64f0, v54
	v_mov_b32_e32 v29, v28
	v_add_f32_e32 v12, v12, v21
	v_add_f32_e32 v16, v16, v25
	;; [unrolled: 1-line block ×3, first 2 shown]
	v_fma_f32 v21, v51, s3, -v23
	v_fmac_f32_e32 v22, 0x3ed4b147, v52
	v_fma_f32 v25, v51, s6, -v27
	v_fmac_f32_e32 v29, 0xbe11bafb, v52
	s_barrier
	ds_write2_b64 v50, v[9:10], v[2:3] offset1:110
	v_add_u32_e32 v2, 0x400, v50
	v_fma_f32 v20, v52, s7, -v20
	v_add_f32_e32 v21, v21, v44
	v_add_f32_e32 v22, v22, v47
	v_fmac_f32_e32 v23, 0x3ed4b147, v51
	v_fma_f32 v24, v52, s3, -v24
	v_add_f32_e32 v25, v25, v46
	v_add_f32_e32 v26, v29, v26
	v_fmac_f32_e32 v27, 0xbe11bafb, v51
	v_fma_f32 v28, v52, s6, -v28
	ds_write2_b64 v2, v[13:14], v[17:18] offset0:92 offset1:202
	v_add_u32_e32 v2, 0xc00, v50
	v_add_f32_e32 v20, v20, v30
	v_add_f32_e32 v23, v23, v31
	;; [unrolled: 1-line block ×5, first 2 shown]
	ds_write2_b64 v2, v[21:22], v[25:26] offset0:56 offset1:166
	ds_write2_b64 v1, v[27:28], v[23:24] offset0:20 offset1:130
	ds_write2_b64 v0, v[19:20], v[15:16] offset0:112 offset1:222
	ds_write_b64 v50, v[11:12] offset:8800
	s_waitcnt lgkmcnt(0)
	s_barrier
	ds_read_b64 v[2:3], v50
	s_add_u32 s8, s12, 0x25c0
	s_addc_u32 s9, s13, 0
	v_sub_u32_e32 v9, 0, v37
	v_cmp_ne_u32_e64 s[2:3], 0, v36
                                        ; implicit-def: $vgpr1
                                        ; implicit-def: $vgpr10
	s_and_saveexec_b64 s[6:7], s[2:3]
	s_xor_b64 s[6:7], exec, s[6:7]
	s_cbranch_execz .LBB0_21
; %bb.20:
	v_mov_b32_e32 v37, 0
	v_lshlrev_b64 v[0:1], 3, v[36:37]
	v_mov_b32_e32 v10, s9
	v_add_co_u32_e64 v0, s[2:3], s8, v0
	v_addc_co_u32_e64 v1, s[2:3], v10, v1, s[2:3]
	global_load_dwordx2 v[11:12], v[0:1], off
	ds_read_b64 v[0:1], v9 offset:9680
	s_waitcnt lgkmcnt(0)
	v_add_f32_e32 v13, v0, v2
	v_sub_f32_e32 v0, v2, v0
	v_add_f32_e32 v10, v1, v3
	v_sub_f32_e32 v1, v3, v1
	v_mul_f32_e32 v3, 0.5, v0
	v_mul_f32_e32 v0, 0.5, v1
	;; [unrolled: 1-line block ×3, first 2 shown]
	s_waitcnt vmcnt(0)
	v_mul_f32_e32 v1, v12, v3
	v_fma_f32 v14, 0.5, v13, v1
	v_fma_f32 v10, v2, v12, v0
	v_fma_f32 v12, v2, v12, -v0
	v_fma_f32 v0, v13, 0.5, -v1
	v_fmac_f32_e32 v14, v11, v2
	v_fma_f32 v10, -v11, v3, v10
	v_fma_f32 v0, -v11, v2, v0
	ds_write_b32 v50, v14
	v_fma_f32 v1, -v11, v3, v12
                                        ; implicit-def: $vgpr2_vgpr3
.LBB0_21:
	s_andn2_saveexec_b64 s[2:3], s[6:7]
	s_cbranch_execz .LBB0_23
; %bb.22:
	v_mov_b32_e32 v10, 0
	ds_read_b32 v1, v10 offset:4844
	s_waitcnt lgkmcnt(1)
	v_add_f32_e32 v11, v2, v3
	v_sub_f32_e32 v0, v2, v3
	ds_write_b32 v50, v11
	s_waitcnt lgkmcnt(1)
	v_xor_b32_e32 v1, 0x80000000, v1
	ds_write_b32 v10, v1 offset:4844
	v_mov_b32_e32 v1, v10
.LBB0_23:
	s_or_b64 exec, exec, s[2:3]
	v_mov_b32_e32 v39, 0
	s_waitcnt lgkmcnt(0)
	v_lshlrev_b64 v[2:3], 3, v[38:39]
	v_mov_b32_e32 v11, s9
	v_add_co_u32_e64 v2, s[2:3], s8, v2
	v_addc_co_u32_e64 v3, s[2:3], v11, v3, s[2:3]
	global_load_dwordx2 v[2:3], v[2:3], off
	v_mov_b32_e32 v44, v39
	v_lshlrev_b64 v[11:12], 3, v[43:44]
	v_mov_b32_e32 v13, s9
	v_add_co_u32_e64 v11, s[2:3], s8, v11
	v_addc_co_u32_e64 v12, s[2:3], v13, v12, s[2:3]
	global_load_dwordx2 v[11:12], v[11:12], off
	v_mov_b32_e32 v43, v39
	;; [unrolled: 6-line block ×3, first 2 shown]
	v_lshlrev_b64 v[17:18], 3, v[41:42]
	ds_write_b32 v50, v10 offset:4
	ds_write_b64 v9, v[0:1] offset:9680
	v_mov_b32_e32 v10, s9
	v_add_co_u32_e64 v17, s[2:3], s8, v17
	v_addc_co_u32_e64 v18, s[2:3], v10, v18, s[2:3]
	ds_read_b64 v[0:1], v8
	ds_read_b64 v[15:16], v9 offset:8800
	global_load_dwordx2 v[17:18], v[17:18], off
	s_waitcnt lgkmcnt(0)
	v_add_f32_e32 v10, v0, v15
	v_sub_f32_e32 v0, v0, v15
	v_add_f32_e32 v19, v1, v16
	v_sub_f32_e32 v1, v1, v16
	v_mul_f32_e32 v16, 0.5, v0
	v_mul_f32_e32 v15, 0.5, v19
	v_mul_f32_e32 v0, 0.5, v1
	s_waitcnt vmcnt(3)
	v_mul_f32_e32 v19, v3, v16
	v_fma_f32 v1, v15, v3, v0
	v_fma_f32 v3, v15, v3, -v0
	v_fma_f32 v0, 0.5, v10, v19
	v_fma_f32 v1, -v2, v16, v1
	v_fma_f32 v10, v10, 0.5, -v19
	v_fmac_f32_e32 v0, v2, v15
	v_fma_f32 v3, -v2, v16, v3
	v_fma_f32 v2, -v2, v15, v10
	ds_write_b64 v8, v[0:1]
	ds_write_b64 v9, v[2:3] offset:8800
	ds_read_b64 v[0:1], v7
	ds_read_b64 v[2:3], v9 offset:7920
	s_waitcnt lgkmcnt(0)
	v_add_f32_e32 v8, v0, v2
	v_sub_f32_e32 v0, v0, v2
	v_add_f32_e32 v10, v1, v3
	v_sub_f32_e32 v1, v1, v3
	v_mul_f32_e32 v3, 0.5, v0
	v_mul_f32_e32 v2, 0.5, v10
	v_mul_f32_e32 v0, 0.5, v1
	s_waitcnt vmcnt(2)
	v_mul_f32_e32 v10, v12, v3
	v_fma_f32 v1, v2, v12, v0
	v_fma_f32 v12, v2, v12, -v0
	v_fma_f32 v0, 0.5, v8, v10
	v_fma_f32 v1, -v11, v3, v1
	v_fma_f32 v8, v8, 0.5, -v10
	v_fmac_f32_e32 v0, v11, v2
	v_fma_f32 v3, -v11, v3, v12
	v_fma_f32 v2, -v11, v2, v8
	ds_write_b64 v7, v[0:1]
	ds_write_b64 v9, v[2:3] offset:7920
	ds_read_b64 v[0:1], v6
	ds_read_b64 v[2:3], v9 offset:7040
	;; [unrolled: 22-line block ×3, first 2 shown]
	s_waitcnt lgkmcnt(0)
	v_add_f32_e32 v6, v0, v2
	v_sub_f32_e32 v0, v0, v2
	v_add_f32_e32 v7, v1, v3
	v_sub_f32_e32 v1, v1, v3
	v_mul_f32_e32 v3, 0.5, v0
	v_mul_f32_e32 v2, 0.5, v7
	;; [unrolled: 1-line block ×3, first 2 shown]
	s_waitcnt vmcnt(0)
	v_mul_f32_e32 v7, v18, v3
	v_fma_f32 v1, v2, v18, v0
	v_fma_f32 v8, v2, v18, -v0
	v_fma_f32 v0, 0.5, v6, v7
	v_fma_f32 v1, -v17, v3, v1
	v_fma_f32 v6, v6, 0.5, -v7
	v_fmac_f32_e32 v0, v17, v2
	v_fma_f32 v3, -v17, v3, v8
	v_fma_f32 v2, -v17, v2, v6
	ds_write_b64 v5, v[0:1]
	ds_write_b64 v9, v[2:3] offset:6160
	s_and_saveexec_b64 s[2:3], vcc
	s_cbranch_execz .LBB0_25
; %bb.24:
	v_mov_b32_e32 v41, v39
	v_lshlrev_b64 v[0:1], 3, v[40:41]
	v_mov_b32_e32 v2, s9
	v_add_co_u32_e32 v0, vcc, s8, v0
	v_addc_co_u32_e32 v1, vcc, v2, v1, vcc
	global_load_dwordx2 v[0:1], v[0:1], off
	ds_read_b64 v[2:3], v4
	ds_read_b64 v[5:6], v9 offset:5280
	s_waitcnt lgkmcnt(0)
	v_add_f32_e32 v7, v2, v5
	v_sub_f32_e32 v2, v2, v5
	v_add_f32_e32 v8, v3, v6
	v_sub_f32_e32 v3, v3, v6
	v_mul_f32_e32 v6, 0.5, v2
	v_mul_f32_e32 v5, 0.5, v8
	;; [unrolled: 1-line block ×3, first 2 shown]
	s_waitcnt vmcnt(0)
	v_mul_f32_e32 v3, v1, v6
	v_fma_f32 v8, v5, v1, v2
	v_fma_f32 v10, v5, v1, -v2
	v_fma_f32 v1, 0.5, v7, v3
	v_fma_f32 v2, -v0, v6, v8
	v_fma_f32 v3, v7, 0.5, -v3
	v_fmac_f32_e32 v1, v0, v5
	v_fma_f32 v6, -v0, v6, v10
	v_fma_f32 v5, -v0, v5, v3
	ds_write_b64 v4, v[1:2]
	ds_write_b64 v9, v[5:6] offset:5280
.LBB0_25:
	s_or_b64 exec, exec, s[2:3]
	s_waitcnt lgkmcnt(0)
	s_barrier
	s_and_saveexec_b64 s[2:3], s[0:1]
	s_cbranch_execz .LBB0_28
; %bb.26:
	v_mul_lo_u32 v2, s5, v34
	v_mul_lo_u32 v3, s4, v35
	v_mad_u64_u32 v[0:1], s[0:1], s4, v34, 0
	v_mov_b32_e32 v6, s11
	v_lshl_add_u32 v8, v36, 3, 0
	v_add3_u32 v1, v1, v3, v2
	v_lshlrev_b64 v[0:1], 3, v[0:1]
	v_mov_b32_e32 v37, 0
	v_add_co_u32_e32 v0, vcc, s10, v0
	v_addc_co_u32_e32 v9, vcc, v6, v1, vcc
	v_lshlrev_b64 v[6:7], 3, v[32:33]
	ds_read2_b64 v[2:5], v8 offset1:110
	v_add_co_u32_e32 v1, vcc, v0, v6
	v_addc_co_u32_e32 v0, vcc, v9, v7, vcc
	v_lshlrev_b64 v[6:7], 3, v[36:37]
	s_movk_i32 s0, 0x6d
	v_add_co_u32_e32 v6, vcc, v1, v6
	v_addc_co_u32_e32 v7, vcc, v0, v7, vcc
	s_waitcnt lgkmcnt(0)
	global_store_dwordx2 v[6:7], v[2:3], off
	v_add_u32_e32 v2, 0x6e, v36
	v_mov_b32_e32 v3, v37
	v_lshlrev_b64 v[2:3], 3, v[2:3]
	v_add_u32_e32 v6, 0xdc, v36
	v_add_co_u32_e32 v2, vcc, v1, v2
	v_addc_co_u32_e32 v3, vcc, v0, v3, vcc
	global_store_dwordx2 v[2:3], v[4:5], off
	v_add_u32_e32 v2, 0x400, v8
	v_mov_b32_e32 v7, v37
	ds_read2_b64 v[2:5], v2 offset0:92 offset1:202
	v_lshlrev_b64 v[6:7], 3, v[6:7]
	v_add_co_u32_e32 v6, vcc, v1, v6
	v_addc_co_u32_e32 v7, vcc, v0, v7, vcc
	s_waitcnt lgkmcnt(0)
	global_store_dwordx2 v[6:7], v[2:3], off
	v_add_u32_e32 v2, 0x14a, v36
	v_mov_b32_e32 v3, v37
	v_lshlrev_b64 v[2:3], 3, v[2:3]
	v_add_u32_e32 v6, 0x1b8, v36
	v_add_co_u32_e32 v2, vcc, v1, v2
	v_addc_co_u32_e32 v3, vcc, v0, v3, vcc
	global_store_dwordx2 v[2:3], v[4:5], off
	v_add_u32_e32 v2, 0xc00, v8
	v_mov_b32_e32 v7, v37
	ds_read2_b64 v[2:5], v2 offset0:56 offset1:166
	v_lshlrev_b64 v[6:7], 3, v[6:7]
	;; [unrolled: 15-line block ×4, first 2 shown]
	v_add_co_u32_e32 v6, vcc, v1, v6
	v_addc_co_u32_e32 v7, vcc, v0, v7, vcc
	s_waitcnt lgkmcnt(0)
	global_store_dwordx2 v[6:7], v[2:3], off
	v_add_u32_e32 v2, 0x3de, v36
	v_mov_b32_e32 v3, v37
	v_lshlrev_b64 v[2:3], 3, v[2:3]
	v_add_co_u32_e32 v2, vcc, v1, v2
	v_addc_co_u32_e32 v3, vcc, v0, v3, vcc
	global_store_dwordx2 v[2:3], v[4:5], off
	v_add_u32_e32 v2, 0x44c, v36
	v_mov_b32_e32 v3, v37
	ds_read_b64 v[4:5], v8 offset:8800
	v_lshlrev_b64 v[2:3], 3, v[2:3]
	v_add_co_u32_e32 v2, vcc, v1, v2
	v_addc_co_u32_e32 v3, vcc, v0, v3, vcc
	v_cmp_eq_u32_e32 vcc, s0, v36
	s_waitcnt lgkmcnt(0)
	global_store_dwordx2 v[2:3], v[4:5], off
	s_and_b64 exec, exec, vcc
	s_cbranch_execz .LBB0_28
; %bb.27:
	ds_read_b64 v[2:3], v37 offset:9680
	v_add_co_u32_e32 v4, vcc, 0x2000, v1
	v_addc_co_u32_e32 v5, vcc, 0, v0, vcc
	s_waitcnt lgkmcnt(0)
	global_store_dwordx2 v[4:5], v[2:3], off offset:1488
.LBB0_28:
	s_endpgm
	.section	.rodata,"a",@progbits
	.p2align	6, 0x0
	.amdhsa_kernel fft_rtc_fwd_len1210_factors_2_5_11_11_wgs_110_tpt_110_halfLds_sp_op_CI_CI_unitstride_sbrr_R2C_dirReg
		.amdhsa_group_segment_fixed_size 0
		.amdhsa_private_segment_fixed_size 0
		.amdhsa_kernarg_size 104
		.amdhsa_user_sgpr_count 6
		.amdhsa_user_sgpr_private_segment_buffer 1
		.amdhsa_user_sgpr_dispatch_ptr 0
		.amdhsa_user_sgpr_queue_ptr 0
		.amdhsa_user_sgpr_kernarg_segment_ptr 1
		.amdhsa_user_sgpr_dispatch_id 0
		.amdhsa_user_sgpr_flat_scratch_init 0
		.amdhsa_user_sgpr_private_segment_size 0
		.amdhsa_uses_dynamic_stack 0
		.amdhsa_system_sgpr_private_segment_wavefront_offset 0
		.amdhsa_system_sgpr_workgroup_id_x 1
		.amdhsa_system_sgpr_workgroup_id_y 0
		.amdhsa_system_sgpr_workgroup_id_z 0
		.amdhsa_system_sgpr_workgroup_info 0
		.amdhsa_system_vgpr_workitem_id 0
		.amdhsa_next_free_vgpr 65
		.amdhsa_next_free_sgpr 28
		.amdhsa_reserve_vcc 1
		.amdhsa_reserve_flat_scratch 0
		.amdhsa_float_round_mode_32 0
		.amdhsa_float_round_mode_16_64 0
		.amdhsa_float_denorm_mode_32 3
		.amdhsa_float_denorm_mode_16_64 3
		.amdhsa_dx10_clamp 1
		.amdhsa_ieee_mode 1
		.amdhsa_fp16_overflow 0
		.amdhsa_exception_fp_ieee_invalid_op 0
		.amdhsa_exception_fp_denorm_src 0
		.amdhsa_exception_fp_ieee_div_zero 0
		.amdhsa_exception_fp_ieee_overflow 0
		.amdhsa_exception_fp_ieee_underflow 0
		.amdhsa_exception_fp_ieee_inexact 0
		.amdhsa_exception_int_div_zero 0
	.end_amdhsa_kernel
	.text
.Lfunc_end0:
	.size	fft_rtc_fwd_len1210_factors_2_5_11_11_wgs_110_tpt_110_halfLds_sp_op_CI_CI_unitstride_sbrr_R2C_dirReg, .Lfunc_end0-fft_rtc_fwd_len1210_factors_2_5_11_11_wgs_110_tpt_110_halfLds_sp_op_CI_CI_unitstride_sbrr_R2C_dirReg
                                        ; -- End function
	.section	.AMDGPU.csdata,"",@progbits
; Kernel info:
; codeLenInByte = 10084
; NumSgprs: 32
; NumVgprs: 65
; ScratchSize: 0
; MemoryBound: 0
; FloatMode: 240
; IeeeMode: 1
; LDSByteSize: 0 bytes/workgroup (compile time only)
; SGPRBlocks: 3
; VGPRBlocks: 16
; NumSGPRsForWavesPerEU: 32
; NumVGPRsForWavesPerEU: 65
; Occupancy: 3
; WaveLimiterHint : 1
; COMPUTE_PGM_RSRC2:SCRATCH_EN: 0
; COMPUTE_PGM_RSRC2:USER_SGPR: 6
; COMPUTE_PGM_RSRC2:TRAP_HANDLER: 0
; COMPUTE_PGM_RSRC2:TGID_X_EN: 1
; COMPUTE_PGM_RSRC2:TGID_Y_EN: 0
; COMPUTE_PGM_RSRC2:TGID_Z_EN: 0
; COMPUTE_PGM_RSRC2:TIDIG_COMP_CNT: 0
	.type	__hip_cuid_f9fd7a1b8b1c1dce,@object ; @__hip_cuid_f9fd7a1b8b1c1dce
	.section	.bss,"aw",@nobits
	.globl	__hip_cuid_f9fd7a1b8b1c1dce
__hip_cuid_f9fd7a1b8b1c1dce:
	.byte	0                               ; 0x0
	.size	__hip_cuid_f9fd7a1b8b1c1dce, 1

	.ident	"AMD clang version 19.0.0git (https://github.com/RadeonOpenCompute/llvm-project roc-6.4.0 25133 c7fe45cf4b819c5991fe208aaa96edf142730f1d)"
	.section	".note.GNU-stack","",@progbits
	.addrsig
	.addrsig_sym __hip_cuid_f9fd7a1b8b1c1dce
	.amdgpu_metadata
---
amdhsa.kernels:
  - .args:
      - .actual_access:  read_only
        .address_space:  global
        .offset:         0
        .size:           8
        .value_kind:     global_buffer
      - .offset:         8
        .size:           8
        .value_kind:     by_value
      - .actual_access:  read_only
        .address_space:  global
        .offset:         16
        .size:           8
        .value_kind:     global_buffer
      - .actual_access:  read_only
        .address_space:  global
        .offset:         24
        .size:           8
        .value_kind:     global_buffer
      - .actual_access:  read_only
        .address_space:  global
        .offset:         32
        .size:           8
        .value_kind:     global_buffer
      - .offset:         40
        .size:           8
        .value_kind:     by_value
      - .actual_access:  read_only
        .address_space:  global
        .offset:         48
        .size:           8
        .value_kind:     global_buffer
      - .actual_access:  read_only
        .address_space:  global
        .offset:         56
        .size:           8
        .value_kind:     global_buffer
      - .offset:         64
        .size:           4
        .value_kind:     by_value
      - .actual_access:  read_only
        .address_space:  global
        .offset:         72
        .size:           8
        .value_kind:     global_buffer
      - .actual_access:  read_only
        .address_space:  global
        .offset:         80
        .size:           8
        .value_kind:     global_buffer
      - .actual_access:  read_only
        .address_space:  global
        .offset:         88
        .size:           8
        .value_kind:     global_buffer
      - .actual_access:  write_only
        .address_space:  global
        .offset:         96
        .size:           8
        .value_kind:     global_buffer
    .group_segment_fixed_size: 0
    .kernarg_segment_align: 8
    .kernarg_segment_size: 104
    .language:       OpenCL C
    .language_version:
      - 2
      - 0
    .max_flat_workgroup_size: 110
    .name:           fft_rtc_fwd_len1210_factors_2_5_11_11_wgs_110_tpt_110_halfLds_sp_op_CI_CI_unitstride_sbrr_R2C_dirReg
    .private_segment_fixed_size: 0
    .sgpr_count:     32
    .sgpr_spill_count: 0
    .symbol:         fft_rtc_fwd_len1210_factors_2_5_11_11_wgs_110_tpt_110_halfLds_sp_op_CI_CI_unitstride_sbrr_R2C_dirReg.kd
    .uniform_work_group_size: 1
    .uses_dynamic_stack: false
    .vgpr_count:     65
    .vgpr_spill_count: 0
    .wavefront_size: 64
amdhsa.target:   amdgcn-amd-amdhsa--gfx906
amdhsa.version:
  - 1
  - 2
...

	.end_amdgpu_metadata
